;; amdgpu-corpus repo=ROCm/rocFFT kind=compiled arch=gfx906 opt=O3
	.text
	.amdgcn_target "amdgcn-amd-amdhsa--gfx906"
	.amdhsa_code_object_version 6
	.protected	fft_rtc_fwd_len1694_factors_11_2_11_7_wgs_154_tpt_154_halfLds_sp_ip_CI_unitstride_sbrr_R2C_dirReg ; -- Begin function fft_rtc_fwd_len1694_factors_11_2_11_7_wgs_154_tpt_154_halfLds_sp_ip_CI_unitstride_sbrr_R2C_dirReg
	.globl	fft_rtc_fwd_len1694_factors_11_2_11_7_wgs_154_tpt_154_halfLds_sp_ip_CI_unitstride_sbrr_R2C_dirReg
	.p2align	8
	.type	fft_rtc_fwd_len1694_factors_11_2_11_7_wgs_154_tpt_154_halfLds_sp_ip_CI_unitstride_sbrr_R2C_dirReg,@function
fft_rtc_fwd_len1694_factors_11_2_11_7_wgs_154_tpt_154_halfLds_sp_ip_CI_unitstride_sbrr_R2C_dirReg: ; @fft_rtc_fwd_len1694_factors_11_2_11_7_wgs_154_tpt_154_halfLds_sp_ip_CI_unitstride_sbrr_R2C_dirReg
; %bb.0:
	s_load_dwordx2 s[12:13], s[4:5], 0x50
	s_load_dwordx4 s[8:11], s[4:5], 0x0
	s_load_dwordx2 s[2:3], s[4:5], 0x18
	v_mul_u32_u24_e32 v1, 0x1aa, v0
	v_add_u32_sdwa v5, s6, v1 dst_sel:DWORD dst_unused:UNUSED_PAD src0_sel:DWORD src1_sel:WORD_1
	v_mov_b32_e32 v3, 0
	s_waitcnt lgkmcnt(0)
	v_cmp_lt_u64_e64 s[0:1], s[10:11], 2
	v_mov_b32_e32 v1, 0
	v_mov_b32_e32 v6, v3
	s_and_b64 vcc, exec, s[0:1]
	v_mov_b32_e32 v2, 0
	s_cbranch_vccnz .LBB0_8
; %bb.1:
	s_load_dwordx2 s[0:1], s[4:5], 0x10
	s_add_u32 s6, s2, 8
	s_addc_u32 s7, s3, 0
	v_mov_b32_e32 v1, 0
	v_mov_b32_e32 v2, 0
	s_waitcnt lgkmcnt(0)
	s_add_u32 s14, s0, 8
	s_addc_u32 s15, s1, 0
	s_mov_b64 s[16:17], 1
.LBB0_2:                                ; =>This Inner Loop Header: Depth=1
	s_load_dwordx2 s[18:19], s[14:15], 0x0
                                        ; implicit-def: $vgpr7_vgpr8
	s_waitcnt lgkmcnt(0)
	v_or_b32_e32 v4, s19, v6
	v_cmp_ne_u64_e32 vcc, 0, v[3:4]
	s_and_saveexec_b64 s[0:1], vcc
	s_xor_b64 s[20:21], exec, s[0:1]
	s_cbranch_execz .LBB0_4
; %bb.3:                                ;   in Loop: Header=BB0_2 Depth=1
	v_cvt_f32_u32_e32 v4, s18
	v_cvt_f32_u32_e32 v7, s19
	s_sub_u32 s0, 0, s18
	s_subb_u32 s1, 0, s19
	v_mac_f32_e32 v4, 0x4f800000, v7
	v_rcp_f32_e32 v4, v4
	v_mul_f32_e32 v4, 0x5f7ffffc, v4
	v_mul_f32_e32 v7, 0x2f800000, v4
	v_trunc_f32_e32 v7, v7
	v_mac_f32_e32 v4, 0xcf800000, v7
	v_cvt_u32_f32_e32 v7, v7
	v_cvt_u32_f32_e32 v4, v4
	v_mul_lo_u32 v8, s0, v7
	v_mul_hi_u32 v9, s0, v4
	v_mul_lo_u32 v11, s1, v4
	v_mul_lo_u32 v10, s0, v4
	v_add_u32_e32 v8, v9, v8
	v_add_u32_e32 v8, v8, v11
	v_mul_hi_u32 v9, v4, v10
	v_mul_lo_u32 v11, v4, v8
	v_mul_hi_u32 v13, v4, v8
	v_mul_hi_u32 v12, v7, v10
	v_mul_lo_u32 v10, v7, v10
	v_mul_hi_u32 v14, v7, v8
	v_add_co_u32_e32 v9, vcc, v9, v11
	v_addc_co_u32_e32 v11, vcc, 0, v13, vcc
	v_mul_lo_u32 v8, v7, v8
	v_add_co_u32_e32 v9, vcc, v9, v10
	v_addc_co_u32_e32 v9, vcc, v11, v12, vcc
	v_addc_co_u32_e32 v10, vcc, 0, v14, vcc
	v_add_co_u32_e32 v8, vcc, v9, v8
	v_addc_co_u32_e32 v9, vcc, 0, v10, vcc
	v_add_co_u32_e32 v4, vcc, v4, v8
	v_addc_co_u32_e32 v7, vcc, v7, v9, vcc
	v_mul_lo_u32 v8, s0, v7
	v_mul_hi_u32 v9, s0, v4
	v_mul_lo_u32 v10, s1, v4
	v_mul_lo_u32 v11, s0, v4
	v_add_u32_e32 v8, v9, v8
	v_add_u32_e32 v8, v8, v10
	v_mul_lo_u32 v12, v4, v8
	v_mul_hi_u32 v13, v4, v11
	v_mul_hi_u32 v14, v4, v8
	;; [unrolled: 1-line block ×3, first 2 shown]
	v_mul_lo_u32 v11, v7, v11
	v_mul_hi_u32 v9, v7, v8
	v_add_co_u32_e32 v12, vcc, v13, v12
	v_addc_co_u32_e32 v13, vcc, 0, v14, vcc
	v_mul_lo_u32 v8, v7, v8
	v_add_co_u32_e32 v11, vcc, v12, v11
	v_addc_co_u32_e32 v10, vcc, v13, v10, vcc
	v_addc_co_u32_e32 v9, vcc, 0, v9, vcc
	v_add_co_u32_e32 v8, vcc, v10, v8
	v_addc_co_u32_e32 v9, vcc, 0, v9, vcc
	v_add_co_u32_e32 v4, vcc, v4, v8
	v_addc_co_u32_e32 v9, vcc, v7, v9, vcc
	v_mad_u64_u32 v[7:8], s[0:1], v5, v9, 0
	v_mul_hi_u32 v10, v5, v4
	v_add_co_u32_e32 v11, vcc, v10, v7
	v_addc_co_u32_e32 v12, vcc, 0, v8, vcc
	v_mad_u64_u32 v[7:8], s[0:1], v6, v4, 0
	v_mad_u64_u32 v[9:10], s[0:1], v6, v9, 0
	v_add_co_u32_e32 v4, vcc, v11, v7
	v_addc_co_u32_e32 v4, vcc, v12, v8, vcc
	v_addc_co_u32_e32 v7, vcc, 0, v10, vcc
	v_add_co_u32_e32 v4, vcc, v4, v9
	v_addc_co_u32_e32 v9, vcc, 0, v7, vcc
	v_mul_lo_u32 v10, s19, v4
	v_mul_lo_u32 v11, s18, v9
	v_mad_u64_u32 v[7:8], s[0:1], s18, v4, 0
	v_add3_u32 v8, v8, v11, v10
	v_sub_u32_e32 v10, v6, v8
	v_mov_b32_e32 v11, s19
	v_sub_co_u32_e32 v7, vcc, v5, v7
	v_subb_co_u32_e64 v10, s[0:1], v10, v11, vcc
	v_subrev_co_u32_e64 v11, s[0:1], s18, v7
	v_subbrev_co_u32_e64 v10, s[0:1], 0, v10, s[0:1]
	v_cmp_le_u32_e64 s[0:1], s19, v10
	v_cndmask_b32_e64 v12, 0, -1, s[0:1]
	v_cmp_le_u32_e64 s[0:1], s18, v11
	v_cndmask_b32_e64 v11, 0, -1, s[0:1]
	v_cmp_eq_u32_e64 s[0:1], s19, v10
	v_cndmask_b32_e64 v10, v12, v11, s[0:1]
	v_add_co_u32_e64 v11, s[0:1], 2, v4
	v_addc_co_u32_e64 v12, s[0:1], 0, v9, s[0:1]
	v_add_co_u32_e64 v13, s[0:1], 1, v4
	v_addc_co_u32_e64 v14, s[0:1], 0, v9, s[0:1]
	v_subb_co_u32_e32 v8, vcc, v6, v8, vcc
	v_cmp_ne_u32_e64 s[0:1], 0, v10
	v_cmp_le_u32_e32 vcc, s19, v8
	v_cndmask_b32_e64 v10, v14, v12, s[0:1]
	v_cndmask_b32_e64 v12, 0, -1, vcc
	v_cmp_le_u32_e32 vcc, s18, v7
	v_cndmask_b32_e64 v7, 0, -1, vcc
	v_cmp_eq_u32_e32 vcc, s19, v8
	v_cndmask_b32_e32 v7, v12, v7, vcc
	v_cmp_ne_u32_e32 vcc, 0, v7
	v_cndmask_b32_e64 v7, v13, v11, s[0:1]
	v_cndmask_b32_e32 v8, v9, v10, vcc
	v_cndmask_b32_e32 v7, v4, v7, vcc
.LBB0_4:                                ;   in Loop: Header=BB0_2 Depth=1
	s_andn2_saveexec_b64 s[0:1], s[20:21]
	s_cbranch_execz .LBB0_6
; %bb.5:                                ;   in Loop: Header=BB0_2 Depth=1
	v_cvt_f32_u32_e32 v4, s18
	s_sub_i32 s20, 0, s18
	v_rcp_iflag_f32_e32 v4, v4
	v_mul_f32_e32 v4, 0x4f7ffffe, v4
	v_cvt_u32_f32_e32 v4, v4
	v_mul_lo_u32 v7, s20, v4
	v_mul_hi_u32 v7, v4, v7
	v_add_u32_e32 v4, v4, v7
	v_mul_hi_u32 v4, v5, v4
	v_mul_lo_u32 v7, v4, s18
	v_add_u32_e32 v8, 1, v4
	v_sub_u32_e32 v7, v5, v7
	v_subrev_u32_e32 v9, s18, v7
	v_cmp_le_u32_e32 vcc, s18, v7
	v_cndmask_b32_e32 v7, v7, v9, vcc
	v_cndmask_b32_e32 v4, v4, v8, vcc
	v_add_u32_e32 v8, 1, v4
	v_cmp_le_u32_e32 vcc, s18, v7
	v_cndmask_b32_e32 v7, v4, v8, vcc
	v_mov_b32_e32 v8, v3
.LBB0_6:                                ;   in Loop: Header=BB0_2 Depth=1
	s_or_b64 exec, exec, s[0:1]
	v_mul_lo_u32 v4, v8, s18
	v_mul_lo_u32 v11, v7, s19
	v_mad_u64_u32 v[9:10], s[0:1], v7, s18, 0
	s_load_dwordx2 s[0:1], s[6:7], 0x0
	s_add_u32 s16, s16, 1
	v_add3_u32 v4, v10, v11, v4
	v_sub_co_u32_e32 v5, vcc, v5, v9
	v_subb_co_u32_e32 v4, vcc, v6, v4, vcc
	s_waitcnt lgkmcnt(0)
	v_mul_lo_u32 v4, s0, v4
	v_mul_lo_u32 v6, s1, v5
	v_mad_u64_u32 v[1:2], s[0:1], s0, v5, v[1:2]
	s_addc_u32 s17, s17, 0
	s_add_u32 s6, s6, 8
	v_add3_u32 v2, v6, v2, v4
	v_mov_b32_e32 v4, s10
	v_mov_b32_e32 v5, s11
	s_addc_u32 s7, s7, 0
	v_cmp_ge_u64_e32 vcc, s[16:17], v[4:5]
	s_add_u32 s14, s14, 8
	s_addc_u32 s15, s15, 0
	s_cbranch_vccnz .LBB0_9
; %bb.7:                                ;   in Loop: Header=BB0_2 Depth=1
	v_mov_b32_e32 v5, v7
	v_mov_b32_e32 v6, v8
	s_branch .LBB0_2
.LBB0_8:
	v_mov_b32_e32 v8, v6
	v_mov_b32_e32 v7, v5
.LBB0_9:
	s_lshl_b64 s[0:1], s[10:11], 3
	s_add_u32 s0, s2, s0
	s_addc_u32 s1, s3, s1
	s_load_dwordx2 s[2:3], s[0:1], 0x0
	s_load_dwordx2 s[6:7], s[4:5], 0x20
                                        ; implicit-def: $vgpr24
                                        ; implicit-def: $vgpr29
                                        ; implicit-def: $vgpr28
                                        ; implicit-def: $vgpr27
                                        ; implicit-def: $vgpr26
	s_waitcnt lgkmcnt(0)
	v_mad_u64_u32 v[1:2], s[0:1], s2, v7, v[1:2]
	s_mov_b32 s0, 0x1a98ef7
	v_mul_lo_u32 v3, s2, v8
	v_mul_lo_u32 v4, s3, v7
	v_mul_hi_u32 v5, v0, s0
	v_cmp_gt_u64_e64 s[0:1], s[6:7], v[7:8]
	v_cmp_le_u64_e32 vcc, s[6:7], v[7:8]
	v_add3_u32 v2, v4, v2, v3
	v_mul_u32_u24_e32 v3, 0x9a, v5
	v_sub_u32_e32 v20, v0, v3
	s_and_saveexec_b64 s[2:3], vcc
	s_xor_b64 s[2:3], exec, s[2:3]
; %bb.10:
	v_add_u32_e32 v24, 0x9a, v20
	v_add_u32_e32 v29, 0x134, v20
	;; [unrolled: 1-line block ×5, first 2 shown]
; %bb.11:
	s_or_saveexec_b64 s[2:3], s[2:3]
	v_lshlrev_b64 v[22:23], 3, v[1:2]
	v_lshl_add_u32 v38, v20, 3, 0
	s_xor_b64 exec, exec, s[2:3]
	s_cbranch_execz .LBB0_13
; %bb.12:
	v_mov_b32_e32 v21, 0
	v_mov_b32_e32 v0, s13
	v_add_co_u32_e32 v2, vcc, s12, v22
	v_addc_co_u32_e32 v3, vcc, v0, v23, vcc
	v_lshlrev_b64 v[0:1], 3, v[20:21]
	s_movk_i32 s4, 0x1000
	v_add_co_u32_e32 v0, vcc, v2, v0
	v_addc_co_u32_e32 v1, vcc, v3, v1, vcc
	v_add_co_u32_e32 v10, vcc, s4, v0
	v_addc_co_u32_e32 v11, vcc, 0, v1, vcc
	;; [unrolled: 2-line block ×3, first 2 shown]
	global_load_dwordx2 v[2:3], v[0:1], off
	global_load_dwordx2 v[4:5], v[0:1], off offset:1232
	global_load_dwordx2 v[6:7], v[0:1], off offset:2464
	;; [unrolled: 1-line block ×3, first 2 shown]
	v_add_co_u32_e32 v0, vcc, 0x3000, v0
	global_load_dwordx2 v[14:15], v[10:11], off offset:832
	global_load_dwordx2 v[16:17], v[10:11], off offset:2064
	;; [unrolled: 1-line block ×6, first 2 shown]
	v_addc_co_u32_e32 v1, vcc, 0, v1, vcc
	global_load_dwordx2 v[0:1], v[0:1], off offset:32
	v_add_u32_e32 v10, 0x800, v38
	v_add_u32_e32 v11, 0x1200, v38
	;; [unrolled: 1-line block ×8, first 2 shown]
	s_waitcnt vmcnt(9)
	ds_write2_b64 v38, v[2:3], v[4:5] offset1:154
	s_waitcnt vmcnt(7)
	ds_write2_b64 v10, v[6:7], v[8:9] offset0:52 offset1:206
	s_waitcnt vmcnt(5)
	ds_write2_b64 v11, v[14:15], v[16:17] offset0:40 offset1:194
	;; [unrolled: 2-line block ×4, first 2 shown]
	v_add_u32_e32 v26, 0x302, v20
	s_waitcnt vmcnt(0)
	ds_write_b64 v38, v[0:1] offset:12320
.LBB0_13:
	s_or_b64 exec, exec, s[2:3]
	s_waitcnt lgkmcnt(0)
	s_barrier
	ds_read2_b64 v[0:3], v38 offset1:154
	v_add_u32_e32 v4, 0x800, v38
	ds_read2_b64 v[4:7], v4 offset0:52 offset1:206
	v_add_u32_e32 v21, 0x2400, v38
	v_add_u32_e32 v8, 0x1200, v38
	ds_read2_b64 v[30:33], v21 offset0:80 offset1:234
	ds_read2_b64 v[12:15], v8 offset0:40 offset1:194
	v_add_u32_e32 v8, 0x1c00, v38
	ds_read2_b64 v[8:11], v8 offset0:28 offset1:182
	s_waitcnt lgkmcnt(4)
	v_add_f32_e32 v17, v1, v3
	v_add_f32_e32 v16, v0, v2
	s_waitcnt lgkmcnt(3)
	v_add_f32_e32 v17, v17, v5
	v_add_f32_e32 v16, v16, v4
	;; [unrolled: 1-line block ×3, first 2 shown]
	s_waitcnt lgkmcnt(2)
	v_add_f32_e32 v37, v32, v4
	v_add_f32_e32 v39, v33, v5
	v_sub_f32_e32 v40, v4, v32
	v_sub_f32_e32 v41, v5, v33
	ds_read_b64 v[4:5], v38 offset:12320
	v_add_f32_e32 v16, v16, v6
	s_waitcnt lgkmcnt(2)
	v_add_f32_e32 v17, v17, v13
	v_add_f32_e32 v16, v16, v12
	;; [unrolled: 1-line block ×4, first 2 shown]
	s_waitcnt lgkmcnt(1)
	v_add_f32_e32 v35, v9, v15
	v_sub_f32_e32 v15, v15, v9
	v_add_f32_e32 v9, v19, v9
	v_add_f32_e32 v34, v8, v14
	v_sub_f32_e32 v36, v14, v8
	v_add_f32_e32 v8, v18, v8
	v_add_f32_e32 v9, v9, v11
	;; [unrolled: 1-line block ×4, first 2 shown]
	v_sub_f32_e32 v45, v7, v31
	v_add_f32_e32 v7, v9, v31
	s_waitcnt lgkmcnt(0)
	v_sub_f32_e32 v9, v3, v5
	v_add_f32_e32 v17, v10, v12
	v_add_f32_e32 v16, v11, v13
	v_sub_f32_e32 v12, v12, v10
	v_sub_f32_e32 v25, v13, v11
	v_add_f32_e32 v42, v30, v6
	v_sub_f32_e32 v44, v6, v30
	v_add_f32_e32 v6, v8, v30
	s_mov_b32 s4, 0x3f575c64
	v_add_f32_e32 v8, v4, v2
	v_mul_f32_e32 v10, 0xbf0a6770, v9
	s_mov_b32 s2, 0x3ed4b147
	v_mul_f32_e32 v13, 0xbf68dda4, v9
	s_mov_b32 s3, 0xbe11bafb
	;; [unrolled: 2-line block ×3, first 2 shown]
	v_mul_f32_e32 v30, 0xbf4178ce, v9
	v_mul_f32_e32 v9, 0xbe903f40, v9
	s_mov_b32 s6, 0xbf75a155
	v_sub_f32_e32 v2, v2, v4
	v_add_f32_e32 v6, v6, v32
	v_fma_f32 v11, v8, s4, -v10
	v_fmac_f32_e32 v10, 0x3f575c64, v8
	v_fma_f32 v14, v8, s2, -v13
	v_fmac_f32_e32 v13, 0x3ed4b147, v8
	;; [unrolled: 2-line block ×5, first 2 shown]
	v_mul_f32_e32 v8, 0xbf0a6770, v2
	v_mul_f32_e32 v46, 0xbf68dda4, v2
	;; [unrolled: 1-line block ×5, first 2 shown]
	v_add_f32_e32 v7, v7, v33
	v_add_f32_e32 v3, v5, v3
	v_mov_b32_e32 v33, v8
	v_mov_b32_e32 v47, v46
	;; [unrolled: 1-line block ×5, first 2 shown]
	v_fmac_f32_e32 v33, 0x3f575c64, v3
	v_fma_f32 v8, v3, s4, -v8
	v_fmac_f32_e32 v47, 0x3ed4b147, v3
	v_fma_f32 v46, v3, s2, -v46
	;; [unrolled: 2-line block ×5, first 2 shown]
	v_add_f32_e32 v11, v0, v11
	v_add_f32_e32 v10, v0, v10
	;; [unrolled: 1-line block ×10, first 2 shown]
	v_mul_f32_e32 v0, 0xbf68dda4, v41
	v_add_f32_e32 v33, v1, v33
	v_add_f32_e32 v8, v1, v8
	;; [unrolled: 1-line block ×12, first 2 shown]
	v_fma_f32 v1, v37, s2, -v0
	v_mul_f32_e32 v6, 0xbf68dda4, v40
	v_mul_f32_e32 v7, 0xbf7d64f0, v45
	v_add_f32_e32 v1, v1, v11
	v_mov_b32_e32 v4, v6
	v_fma_f32 v5, v42, s3, -v7
	v_mul_f32_e32 v9, 0xbf7d64f0, v44
	v_fmac_f32_e32 v4, 0x3ed4b147, v39
	v_add_f32_e32 v1, v5, v1
	v_mov_b32_e32 v5, v9
	v_add_f32_e32 v4, v4, v33
	v_fmac_f32_e32 v5, 0xbe11bafb, v43
	v_mul_f32_e32 v11, 0xbf4178ce, v25
	v_add_f32_e32 v4, v5, v4
	v_fma_f32 v5, v17, s5, -v11
	v_mul_f32_e32 v33, 0xbf4178ce, v12
	v_add_f32_e32 v1, v5, v1
	v_mov_b32_e32 v5, v33
	v_fmac_f32_e32 v0, 0x3ed4b147, v37
	v_fmac_f32_e32 v5, 0xbf27a4f4, v16
	v_mul_f32_e32 v55, 0xbe903f40, v15
	v_add_f32_e32 v0, v0, v10
	v_fma_f32 v6, v39, s2, -v6
	v_fmac_f32_e32 v7, 0xbe11bafb, v42
	v_add_f32_e32 v5, v5, v4
	v_fma_f32 v4, v34, s6, -v55
	v_add_f32_e32 v6, v6, v8
	v_add_f32_e32 v0, v7, v0
	v_fma_f32 v7, v43, s3, -v9
	v_add_f32_e32 v4, v4, v1
	v_mul_f32_e32 v1, 0xbe903f40, v36
	v_add_f32_e32 v6, v7, v6
	v_fma_f32 v7, v16, s5, -v33
	v_mov_b32_e32 v56, v1
	v_add_f32_e32 v6, v7, v6
	v_fma_f32 v1, v35, s6, -v1
	v_mul_f32_e32 v8, 0xbf4178ce, v41
	v_fmac_f32_e32 v11, 0xbf27a4f4, v17
	v_add_f32_e32 v1, v1, v6
	v_fma_f32 v6, v37, s5, -v8
	v_mul_f32_e32 v10, 0x3e903f40, v45
	v_add_f32_e32 v0, v11, v0
	v_add_f32_e32 v6, v6, v14
	v_mul_f32_e32 v9, 0xbf4178ce, v40
	v_fma_f32 v11, v42, s6, -v10
	v_mov_b32_e32 v7, v9
	v_add_f32_e32 v6, v11, v6
	v_mul_f32_e32 v11, 0x3e903f40, v44
	v_fmac_f32_e32 v7, 0xbf27a4f4, v39
	v_mov_b32_e32 v14, v11
	v_add_f32_e32 v7, v7, v47
	v_fmac_f32_e32 v14, 0xbf75a155, v43
	v_add_f32_e32 v7, v14, v7
	v_mul_f32_e32 v14, 0x3f7d64f0, v25
	v_fma_f32 v33, v17, s3, -v14
	v_add_f32_e32 v6, v33, v6
	v_mul_f32_e32 v33, 0x3f7d64f0, v12
	v_mov_b32_e32 v47, v33
	v_fmac_f32_e32 v47, 0xbe11bafb, v16
	v_fmac_f32_e32 v8, 0xbf27a4f4, v37
	;; [unrolled: 1-line block ×3, first 2 shown]
	v_add_f32_e32 v7, v47, v7
	v_mul_f32_e32 v47, 0x3f0a6770, v15
	v_add_f32_e32 v8, v8, v13
	v_fma_f32 v9, v39, s5, -v9
	v_fmac_f32_e32 v10, 0xbf75a155, v42
	v_add_f32_e32 v0, v55, v0
	v_fma_f32 v55, v34, s4, -v47
	v_add_f32_e32 v9, v9, v46
	v_add_f32_e32 v8, v10, v8
	v_fma_f32 v10, v43, s6, -v11
	v_add_f32_e32 v6, v55, v6
	v_mul_f32_e32 v55, 0x3f0a6770, v36
	v_add_f32_e32 v9, v10, v9
	v_fma_f32 v10, v16, s3, -v33
	v_add_f32_e32 v9, v10, v9
	v_fma_f32 v10, v35, s4, -v55
	v_mul_f32_e32 v13, 0x3e903f40, v41
	v_add_f32_e32 v9, v10, v9
	v_fma_f32 v10, v37, s6, -v13
	v_fmac_f32_e32 v14, 0xbe11bafb, v17
	v_add_f32_e32 v10, v10, v19
	v_mul_f32_e32 v19, 0x3f68dda4, v45
	v_add_f32_e32 v8, v14, v8
	v_mul_f32_e32 v14, 0x3e903f40, v40
	v_fma_f32 v33, v42, s2, -v19
	v_mov_b32_e32 v11, v14
	v_add_f32_e32 v10, v33, v10
	v_mul_f32_e32 v33, 0x3f68dda4, v44
	v_fmac_f32_e32 v11, 0xbf75a155, v39
	v_mov_b32_e32 v46, v33
	v_add_f32_e32 v11, v11, v49
	v_fmac_f32_e32 v46, 0x3ed4b147, v43
	v_fmac_f32_e32 v47, 0x3f575c64, v34
	v_add_f32_e32 v11, v46, v11
	v_mul_f32_e32 v46, 0xbf0a6770, v25
	v_add_f32_e32 v8, v47, v8
	v_fma_f32 v47, v17, s4, -v46
	v_add_f32_e32 v10, v47, v10
	v_mul_f32_e32 v47, 0xbf0a6770, v12
	v_mov_b32_e32 v49, v47
	v_fmac_f32_e32 v49, 0x3f575c64, v16
	v_fmac_f32_e32 v56, 0xbf75a155, v35
	v_add_f32_e32 v11, v49, v11
	v_mul_f32_e32 v49, 0xbf4178ce, v15
	v_fmac_f32_e32 v13, 0xbf75a155, v37
	v_fma_f32 v14, v39, s6, -v14
	v_add_f32_e32 v5, v56, v5
	v_mov_b32_e32 v56, v55
	v_fma_f32 v55, v34, s5, -v49
	v_add_f32_e32 v13, v13, v18
	v_add_f32_e32 v14, v14, v48
	v_fma_f32 v18, v43, s2, -v33
	v_add_f32_e32 v10, v55, v10
	v_mul_f32_e32 v55, 0xbf4178ce, v36
	v_fmac_f32_e32 v19, 0x3ed4b147, v42
	v_add_f32_e32 v14, v18, v14
	v_fma_f32 v18, v16, s4, -v47
	v_add_f32_e32 v13, v19, v13
	v_fmac_f32_e32 v46, 0x3f575c64, v17
	v_add_f32_e32 v14, v18, v14
	v_fma_f32 v18, v35, s5, -v55
	v_mul_f32_e32 v33, 0x3f7d64f0, v41
	v_add_f32_e32 v13, v46, v13
	v_add_f32_e32 v14, v18, v14
	v_fma_f32 v18, v37, s3, -v33
	v_mul_f32_e32 v46, 0xbf0a6770, v45
	v_add_f32_e32 v18, v18, v31
	v_mul_f32_e32 v31, 0x3f7d64f0, v40
	v_fma_f32 v47, v42, s4, -v46
	v_mov_b32_e32 v19, v31
	v_add_f32_e32 v18, v47, v18
	v_mul_f32_e32 v47, 0xbf0a6770, v44
	v_fmac_f32_e32 v19, 0xbe11bafb, v39
	v_mov_b32_e32 v48, v47
	v_add_f32_e32 v19, v19, v51
	v_fmac_f32_e32 v48, 0x3f575c64, v43
	v_fmac_f32_e32 v49, 0xbf27a4f4, v34
	v_add_f32_e32 v19, v48, v19
	v_mul_f32_e32 v48, 0xbe903f40, v25
	v_add_f32_e32 v13, v49, v13
	v_fma_f32 v49, v17, s6, -v48
	v_add_f32_e32 v18, v49, v18
	v_mul_f32_e32 v49, 0xbe903f40, v12
	v_mov_b32_e32 v51, v49
	v_fmac_f32_e32 v51, 0xbf75a155, v16
	v_fmac_f32_e32 v56, 0x3f575c64, v35
	v_add_f32_e32 v19, v51, v19
	v_mul_f32_e32 v51, 0x3f68dda4, v15
	v_fmac_f32_e32 v33, 0xbe11bafb, v37
	v_fma_f32 v31, v39, s3, -v31
	v_add_f32_e32 v7, v56, v7
	v_mov_b32_e32 v56, v55
	v_fma_f32 v55, v34, s2, -v51
	v_add_f32_e32 v30, v33, v30
	v_add_f32_e32 v31, v31, v50
	v_fma_f32 v33, v43, s4, -v47
	v_add_f32_e32 v18, v55, v18
	v_mul_f32_e32 v55, 0x3f68dda4, v36
	v_add_f32_e32 v31, v33, v31
	v_fma_f32 v33, v16, s6, -v49
	v_add_f32_e32 v31, v33, v31
	v_fma_f32 v33, v35, s2, -v55
	v_mul_f32_e32 v41, 0x3f0a6770, v41
	v_fmac_f32_e32 v46, 0x3f575c64, v42
	v_add_f32_e32 v31, v33, v31
	v_fma_f32 v33, v37, s4, -v41
	v_mul_f32_e32 v40, 0x3f0a6770, v40
	v_mul_f32_e32 v45, 0xbf4178ce, v45
	v_add_f32_e32 v30, v46, v30
	v_add_f32_e32 v32, v33, v32
	v_mov_b32_e32 v33, v40
	v_fma_f32 v46, v42, s5, -v45
	v_mul_f32_e32 v44, 0xbf4178ce, v44
	v_fmac_f32_e32 v33, 0x3f575c64, v39
	v_add_f32_e32 v32, v46, v32
	v_mov_b32_e32 v46, v44
	v_add_f32_e32 v33, v33, v52
	v_fmac_f32_e32 v46, 0xbf27a4f4, v43
	v_mul_f32_e32 v25, 0x3f68dda4, v25
	v_add_f32_e32 v33, v46, v33
	v_fma_f32 v46, v17, s2, -v25
	v_mul_f32_e32 v12, 0x3f68dda4, v12
	v_add_f32_e32 v32, v46, v32
	v_mov_b32_e32 v46, v12
	v_fma_f32 v39, v39, s4, -v40
	v_fmac_f32_e32 v46, 0x3ed4b147, v16
	v_mul_f32_e32 v15, 0xbf7d64f0, v15
	v_fmac_f32_e32 v41, 0x3f575c64, v37
	v_add_f32_e32 v39, v39, v54
	v_fma_f32 v40, v43, s5, -v44
	v_fmac_f32_e32 v56, 0xbf27a4f4, v35
	v_add_f32_e32 v33, v46, v33
	v_fma_f32 v46, v34, s3, -v15
	v_mul_f32_e32 v36, 0xbf7d64f0, v36
	v_add_f32_e32 v37, v41, v53
	v_fmac_f32_e32 v45, 0xbf27a4f4, v42
	v_add_f32_e32 v39, v40, v39
	v_fma_f32 v12, v16, s2, -v12
	v_add_f32_e32 v11, v56, v11
	v_mov_b32_e32 v56, v55
	v_fmac_f32_e32 v48, 0xbf75a155, v17
	v_add_f32_e32 v32, v46, v32
	v_mov_b32_e32 v46, v36
	v_add_f32_e32 v37, v45, v37
	v_fmac_f32_e32 v25, 0x3ed4b147, v17
	v_add_f32_e32 v12, v12, v39
	v_fma_f32 v16, v35, s3, -v36
	s_movk_i32 s2, 0x50
	v_fmac_f32_e32 v56, 0x3ed4b147, v35
	v_add_f32_e32 v30, v48, v30
	v_fmac_f32_e32 v51, 0x3ed4b147, v34
	v_fmac_f32_e32 v46, 0xbe11bafb, v35
	v_add_f32_e32 v17, v25, v37
	v_fmac_f32_e32 v15, 0xbe11bafb, v34
	v_add_f32_e32 v16, v16, v12
	v_mad_u32_u24 v12, v20, s2, v38
	v_add_f32_e32 v19, v56, v19
	v_add_f32_e32 v30, v51, v30
	;; [unrolled: 1-line block ×4, first 2 shown]
	s_barrier
	ds_write2_b64 v12, v[2:3], v[4:5] offset1:1
	ds_write2_b64 v12, v[6:7], v[10:11] offset0:2 offset1:3
	ds_write2_b64 v12, v[18:19], v[32:33] offset0:4 offset1:5
	;; [unrolled: 1-line block ×4, first 2 shown]
	ds_write_b64 v12, v[0:1] offset:80
	v_add_u32_e32 v2, 0x1800, v38
	v_lshl_add_u32 v43, v24, 3, 0
	s_waitcnt lgkmcnt(0)
	s_barrier
	ds_read2_b64 v[4:7], v2 offset0:79 offset1:233
	v_lshl_add_u32 v42, v29, 3, 0
	v_lshl_add_u32 v41, v28, 3, 0
	;; [unrolled: 1-line block ×3, first 2 shown]
	ds_read_b64 v[16:17], v43
	ds_read_b64 v[14:15], v42
	;; [unrolled: 1-line block ×5, first 2 shown]
	ds_read_b64 v[32:33], v38 offset:11704
	ds_read2_b64 v[8:11], v21 offset0:3 offset1:157
	s_movk_i32 s2, 0x4d
	v_cmp_gt_u32_e32 vcc, s2, v20
	v_lshl_add_u32 v39, v26, 3, 0
                                        ; implicit-def: $vgpr3
	s_and_saveexec_b64 s[2:3], vcc
	s_cbranch_execz .LBB0_15
; %bb.14:
	ds_read_b64 v[0:1], v39
	ds_read_b64 v[2:3], v38 offset:12936
.LBB0_15:
	s_or_b64 exec, exec, s[2:3]
	s_mov_b32 s2, 0xba2f
	v_mul_u32_u24_sdwa v21, v27, s2 dst_sel:DWORD dst_unused:UNUSED_PAD src0_sel:WORD_0 src1_sel:DWORD
	v_lshrrev_b32_e32 v37, 19, v21
	v_mul_lo_u16_e32 v21, 11, v37
	v_sub_u16_e32 v21, v27, v21
	v_lshlrev_b32_e32 v50, 3, v21
	global_load_dwordx2 v[35:36], v50, s[8:9]
	s_movk_i32 s3, 0x75
	v_mul_lo_u16_sdwa v46, v20, s3 dst_sel:DWORD dst_unused:UNUSED_PAD src0_sel:BYTE_0 src1_sel:DWORD
	v_sub_u16_sdwa v47, v20, v46 dst_sel:DWORD dst_unused:UNUSED_PAD src0_sel:DWORD src1_sel:BYTE_1
	v_lshrrev_b16_e32 v47, 1, v47
	v_and_b32_e32 v47, 0x7f, v47
	v_mul_u32_u24_sdwa v25, v24, s2 dst_sel:DWORD dst_unused:UNUSED_PAD src0_sel:WORD_0 src1_sel:DWORD
	v_mul_u32_u24_sdwa v45, v26, s2 dst_sel:DWORD dst_unused:UNUSED_PAD src0_sel:WORD_0 src1_sel:DWORD
	v_add_u16_sdwa v46, v47, v46 dst_sel:DWORD dst_unused:UNUSED_PAD src0_sel:DWORD src1_sel:BYTE_1
	v_mul_u32_u24_sdwa v34, v29, s2 dst_sel:DWORD dst_unused:UNUSED_PAD src0_sel:WORD_0 src1_sel:DWORD
	v_lshrrev_b32_e32 v51, 19, v25
	v_lshrrev_b32_e32 v25, 19, v45
	v_lshrrev_b16_e32 v55, 3, v46
	v_lshrrev_b32_e32 v52, 19, v34
	v_mul_lo_u16_e32 v34, 11, v25
	v_mul_lo_u16_e32 v46, 11, v55
	v_mov_b32_e32 v21, 3
	v_sub_u16_e32 v34, v26, v34
	v_sub_u16_e32 v46, v20, v46
	v_mul_u32_u24_sdwa v44, v28, s2 dst_sel:DWORD dst_unused:UNUSED_PAD src0_sel:WORD_0 src1_sel:DWORD
	v_mul_lo_u16_e32 v48, 11, v51
	v_lshlrev_b32_e32 v34, 3, v34
	v_lshlrev_b32_sdwa v56, v21, v46 dst_sel:DWORD dst_unused:UNUSED_PAD src0_sel:DWORD src1_sel:BYTE_0
	global_load_dwordx2 v[46:47], v56, s[8:9]
	v_lshrrev_b32_e32 v53, 19, v44
	v_mul_lo_u16_e32 v49, 11, v52
	global_load_dwordx2 v[44:45], v34, s[8:9]
	v_sub_u16_e32 v48, v24, v48
	v_sub_u16_e32 v49, v29, v49
	v_lshlrev_b32_e32 v57, 3, v48
	v_mul_lo_u16_e32 v54, 11, v53
	v_lshlrev_b32_e32 v58, 3, v49
	global_load_dwordx2 v[48:49], v57, s[8:9]
	v_sub_u16_e32 v54, v28, v54
	v_lshlrev_b32_e32 v54, 3, v54
	v_mul_u32_u24_e32 v55, 0xb0, v55
	v_add3_u32 v55, 0, v55, v56
	s_waitcnt vmcnt(3) lgkmcnt(1)
	v_mul_f32_e32 v59, v36, v33
	v_mul_f32_e32 v60, v36, v32
	v_fma_f32 v59, v35, v32, -v59
	v_fmac_f32_e32 v60, v35, v33
	global_load_dwordx2 v[32:33], v58, s[8:9]
	global_load_dwordx2 v[35:36], v54, s[8:9]
	s_waitcnt vmcnt(0) lgkmcnt(0)
	s_barrier
	v_mul_f32_e32 v56, v3, v45
	v_mul_f32_e32 v61, v2, v45
	v_fma_f32 v2, v2, v44, -v56
	v_mul_f32_e32 v56, v47, v5
	v_mul_f32_e32 v47, v47, v4
	v_fmac_f32_e32 v47, v46, v5
	v_mul_f32_e32 v5, v49, v7
	v_fma_f32 v4, v46, v4, -v56
	v_mul_f32_e32 v46, v49, v6
	v_fma_f32 v6, v48, v6, -v5
	v_sub_f32_e32 v4, v18, v4
	v_fmac_f32_e32 v46, v48, v7
	v_fma_f32 v18, v18, 2.0, -v4
	v_sub_f32_e32 v6, v16, v6
	v_fma_f32 v16, v16, 2.0, -v6
	v_fmac_f32_e32 v61, v3, v44
	v_sub_f32_e32 v44, v30, v59
	v_sub_f32_e32 v45, v31, v60
	;; [unrolled: 1-line block ×4, first 2 shown]
	v_fma_f32 v30, v30, 2.0, -v44
	v_fma_f32 v31, v31, 2.0, -v45
	v_mul_f32_e32 v5, v33, v9
	v_mul_f32_e32 v33, v33, v8
	v_fma_f32 v8, v32, v8, -v5
	v_sub_f32_e32 v5, v19, v47
	v_mul_f32_e32 v7, v36, v11
	v_fma_f32 v19, v19, 2.0, -v5
	v_mul_f32_e32 v36, v36, v10
	v_fma_f32 v10, v35, v10, -v7
	v_sub_f32_e32 v7, v17, v46
	ds_write2_b64 v55, v[18:19], v[4:5] offset1:11
	v_mul_u32_u24_e32 v4, 0xb0, v51
	v_fmac_f32_e32 v33, v32, v9
	v_fma_f32 v17, v17, 2.0, -v7
	v_add3_u32 v4, 0, v4, v57
	v_sub_f32_e32 v8, v14, v8
	v_sub_f32_e32 v9, v15, v33
	ds_write2_b64 v4, v[16:17], v[6:7] offset1:11
	v_mul_u32_u24_e32 v4, 0xb0, v52
	v_fmac_f32_e32 v36, v35, v11
	v_fma_f32 v14, v14, 2.0, -v8
	v_fma_f32 v15, v15, 2.0, -v9
	v_add3_u32 v4, 0, v4, v58
	v_sub_f32_e32 v10, v12, v10
	v_sub_f32_e32 v11, v13, v36
	ds_write2_b64 v4, v[14:15], v[8:9] offset1:11
	v_mul_u32_u24_e32 v4, 0xb0, v53
	v_fma_f32 v12, v12, 2.0, -v10
	v_fma_f32 v13, v13, 2.0, -v11
	v_add3_u32 v4, 0, v4, v54
	ds_write2_b64 v4, v[12:13], v[10:11] offset1:11
	v_mul_u32_u24_e32 v4, 0xb0, v37
	v_add3_u32 v4, 0, v4, v50
	ds_write2_b64 v4, v[30:31], v[44:45] offset1:11
	s_and_saveexec_b64 s[2:3], vcc
	s_cbranch_execz .LBB0_17
; %bb.16:
	v_mul_lo_u16_e32 v4, 22, v25
	v_lshlrev_b32_e32 v4, 3, v4
	v_fma_f32 v1, v1, 2.0, -v3
	v_fma_f32 v0, v0, 2.0, -v2
	v_add3_u32 v4, 0, v34, v4
	ds_write2_b64 v4, v[0:1], v[2:3] offset1:11
.LBB0_17:
	s_or_b64 exec, exec, s[2:3]
	v_lshrrev_b16_e32 v0, 1, v20
	v_and_b32_e32 v0, 0x7f, v0
	v_mul_lo_u16_e32 v0, 0xbb, v0
	v_lshrrev_b16_e32 v25, 11, v0
	v_mul_lo_u16_e32 v0, 22, v25
	v_sub_u16_e32 v60, v20, v0
	v_mov_b32_e32 v0, 10
	v_mul_u32_u24_sdwa v0, v60, v0 dst_sel:DWORD dst_unused:UNUSED_PAD src0_sel:BYTE_0 src1_sel:DWORD
	v_lshlrev_b32_e32 v0, 3, v0
	s_waitcnt lgkmcnt(0)
	s_barrier
	global_load_dwordx4 v[4:7], v0, s[8:9] offset:88
	global_load_dwordx4 v[8:11], v0, s[8:9] offset:104
	;; [unrolled: 1-line block ×5, first 2 shown]
	ds_read_b64 v[0:1], v43
	ds_read_b64 v[48:49], v42
	;; [unrolled: 1-line block ×4, first 2 shown]
	ds_read_b64 v[54:55], v38 offset:12320
	ds_read_b64 v[56:57], v38
	ds_read_b64 v[58:59], v39
	v_add_u32_e32 v34, 0x1c00, v38
	v_add_u32_e32 v44, 0x2400, v38
	ds_read2_b64 v[34:37], v34 offset0:28 offset1:182
	ds_read2_b64 v[44:47], v44 offset0:80 offset1:234
	s_mov_b32 s2, 0x3f575c64
	s_mov_b32 s3, 0x3ed4b147
	;; [unrolled: 1-line block ×3, first 2 shown]
	s_waitcnt vmcnt(0) lgkmcnt(0)
	s_barrier
	v_mul_f32_e32 v61, v5, v1
	v_mul_f32_e32 v5, v5, v0
	;; [unrolled: 1-line block ×3, first 2 shown]
	v_fmac_f32_e32 v5, v4, v1
	v_mul_f32_e32 v1, v7, v48
	v_fma_f32 v0, v4, v0, -v61
	v_mul_f32_e32 v4, v9, v51
	v_fma_f32 v7, v6, v48, -v62
	v_fmac_f32_e32 v1, v6, v49
	v_mul_f32_e32 v6, v9, v50
	v_mul_f32_e32 v9, v11, v53
	v_mul_f32_e32 v11, v11, v52
	v_mul_f32_e32 v48, v13, v59
	v_mul_f32_e32 v13, v13, v58
	v_mul_f32_e32 v49, v35, v15
	v_fma_f32 v50, v8, v50, -v4
	v_fmac_f32_e32 v6, v8, v51
	v_mul_f32_e32 v8, v34, v15
	v_mul_f32_e32 v4, v37, v17
	v_fma_f32 v9, v10, v52, -v9
	v_fmac_f32_e32 v11, v10, v53
	v_mul_f32_e32 v10, v36, v17
	v_mul_f32_e32 v15, v45, v19
	;; [unrolled: 1-line block ×4, first 2 shown]
	v_fma_f32 v48, v12, v58, -v48
	v_fmac_f32_e32 v13, v12, v59
	v_mul_f32_e32 v12, v54, v33
	v_mul_f32_e32 v51, v55, v33
	v_fma_f32 v33, v34, v14, -v49
	v_fmac_f32_e32 v8, v35, v14
	v_fma_f32 v14, v36, v16, -v4
	v_fmac_f32_e32 v10, v37, v16
	;; [unrolled: 2-line block ×4, first 2 shown]
	v_add_f32_e32 v18, v0, v56
	v_add_f32_e32 v19, v5, v57
	v_fma_f32 v4, v54, v32, -v51
	v_add_f32_e32 v32, v5, v12
	v_sub_f32_e32 v34, v5, v12
	v_add_f32_e32 v5, v18, v7
	v_add_f32_e32 v18, v19, v1
	;; [unrolled: 1-line block ×10, first 2 shown]
	v_mul_f32_e32 v31, v46, v31
	v_add_f32_e32 v5, v5, v14
	v_add_f32_e32 v18, v18, v10
	v_fmac_f32_e32 v31, v47, v30
	v_add_f32_e32 v30, v0, v4
	v_mul_f32_e32 v19, 0xbf0a6770, v34
	v_add_f32_e32 v5, v5, v15
	v_add_f32_e32 v18, v18, v17
	v_fma_f32 v36, v30, s2, -v19
	v_add_f32_e32 v5, v5, v16
	v_add_f32_e32 v18, v18, v31
	v_fmac_f32_e32 v19, 0x3f575c64, v30
	v_sub_f32_e32 v0, v0, v4
	v_add_f32_e32 v4, v5, v4
	v_add_f32_e32 v5, v18, v12
	;; [unrolled: 1-line block ×3, first 2 shown]
	v_mul_f32_e32 v19, 0xbf68dda4, v34
	v_mul_f32_e32 v46, 0xbf7d64f0, v34
	;; [unrolled: 1-line block ×8, first 2 shown]
	v_fma_f32 v58, v30, s6, -v34
	v_mul_f32_e32 v0, 0xbe903f40, v0
	v_fmac_f32_e32 v34, 0xbf75a155, v30
	v_mov_b32_e32 v37, v35
	v_fma_f32 v18, v32, s2, -v35
	v_fma_f32 v35, v30, s3, -v19
	v_mov_b32_e32 v45, v44
	v_fmac_f32_e32 v19, 0x3ed4b147, v30
	v_fma_f32 v47, v30, s4, -v46
	v_mov_b32_e32 v51, v49
	v_fmac_f32_e32 v46, 0xbe11bafb, v30
	;; [unrolled: 3-line block ×3, first 2 shown]
	v_mov_b32_e32 v59, v0
	v_add_f32_e32 v30, v34, v56
	v_add_f32_e32 v34, v1, v31
	v_sub_f32_e32 v1, v1, v31
	v_fmac_f32_e32 v37, 0x3f575c64, v32
	v_fmac_f32_e32 v45, 0x3ed4b147, v32
	v_fma_f32 v44, v32, s3, -v44
	v_fmac_f32_e32 v51, 0xbe11bafb, v32
	v_fma_f32 v49, v32, s4, -v49
	;; [unrolled: 2-line block ×4, first 2 shown]
	v_add_f32_e32 v32, v7, v16
	v_sub_f32_e32 v7, v7, v16
	v_mul_f32_e32 v16, 0xbf68dda4, v1
	v_add_f32_e32 v36, v36, v56
	v_fma_f32 v31, v32, s3, -v16
	v_add_f32_e32 v31, v31, v36
	v_mul_f32_e32 v36, 0xbf68dda4, v7
	v_fmac_f32_e32 v16, 0x3ed4b147, v32
	v_add_f32_e32 v18, v18, v57
	v_add_f32_e32 v12, v16, v12
	v_fma_f32 v16, v34, s3, -v36
	v_add_f32_e32 v16, v16, v18
	v_mul_f32_e32 v18, 0xbf4178ce, v1
	v_add_f32_e32 v35, v35, v56
	v_add_f32_e32 v19, v19, v56
	;; [unrolled: 1-line block ×7, first 2 shown]
	v_mov_b32_e32 v56, v36
	v_fma_f32 v36, v32, s5, -v18
	v_add_f32_e32 v37, v37, v57
	v_fmac_f32_e32 v56, 0x3ed4b147, v34
	v_add_f32_e32 v35, v36, v35
	v_mul_f32_e32 v36, 0xbf4178ce, v7
	v_fmac_f32_e32 v18, 0xbf27a4f4, v32
	v_add_f32_e32 v44, v44, v57
	v_add_f32_e32 v37, v56, v37
	v_mov_b32_e32 v56, v36
	v_add_f32_e32 v18, v18, v19
	v_fma_f32 v19, v34, s5, -v36
	v_mul_f32_e32 v36, 0x3e903f40, v1
	v_add_f32_e32 v19, v19, v44
	v_fma_f32 v44, v32, s6, -v36
	v_add_f32_e32 v45, v45, v57
	v_fmac_f32_e32 v56, 0xbf27a4f4, v34
	v_add_f32_e32 v44, v44, v47
	v_mul_f32_e32 v47, 0x3e903f40, v7
	v_fmac_f32_e32 v36, 0xbf75a155, v32
	v_add_f32_e32 v49, v49, v57
	v_add_f32_e32 v45, v56, v45
	v_mov_b32_e32 v56, v47
	v_add_f32_e32 v36, v36, v46
	v_fma_f32 v46, v34, s6, -v47
	v_mul_f32_e32 v47, 0x3f7d64f0, v1
	v_add_f32_e32 v46, v46, v49
	v_fma_f32 v49, v32, s4, -v47
	v_add_f32_e32 v51, v51, v57
	v_fmac_f32_e32 v56, 0xbf75a155, v34
	v_add_f32_e32 v49, v49, v53
	v_mul_f32_e32 v53, 0x3f7d64f0, v7
	v_fmac_f32_e32 v47, 0xbe11bafb, v32
	v_mul_f32_e32 v1, 0x3f0a6770, v1
	v_add_f32_e32 v54, v54, v57
	v_add_f32_e32 v51, v56, v51
	v_mov_b32_e32 v56, v53
	v_add_f32_e32 v47, v47, v52
	v_fma_f32 v52, v34, s4, -v53
	v_fma_f32 v53, v32, s2, -v1
	v_mul_f32_e32 v7, 0x3f0a6770, v7
	v_fmac_f32_e32 v1, 0x3f575c64, v32
	v_add_f32_e32 v0, v0, v57
	v_add_f32_e32 v52, v52, v54
	v_mov_b32_e32 v54, v7
	v_add_f32_e32 v1, v1, v30
	v_fma_f32 v7, v34, s2, -v7
	v_add_f32_e32 v30, v6, v17
	v_sub_f32_e32 v6, v6, v17
	v_add_f32_e32 v0, v7, v0
	v_add_f32_e32 v7, v50, v15
	v_mul_f32_e32 v17, 0xbf7d64f0, v6
	v_sub_f32_e32 v15, v50, v15
	v_fma_f32 v32, v7, s4, -v17
	v_add_f32_e32 v31, v32, v31
	v_mul_f32_e32 v32, 0xbf7d64f0, v15
	v_fmac_f32_e32 v17, 0xbe11bafb, v7
	v_add_f32_e32 v12, v17, v12
	v_fma_f32 v17, v30, s4, -v32
	v_add_f32_e32 v16, v17, v16
	v_mul_f32_e32 v17, 0x3e903f40, v6
	v_fmac_f32_e32 v56, 0xbe11bafb, v34
	v_fmac_f32_e32 v54, 0x3f575c64, v34
	v_mov_b32_e32 v34, v32
	v_fma_f32 v32, v7, s6, -v17
	v_add_f32_e32 v32, v32, v35
	v_mul_f32_e32 v35, 0x3e903f40, v15
	v_fmac_f32_e32 v17, 0xbf75a155, v7
	v_add_f32_e32 v17, v17, v18
	v_fma_f32 v18, v30, s6, -v35
	v_fmac_f32_e32 v34, 0xbe11bafb, v30
	v_add_f32_e32 v18, v18, v19
	v_mul_f32_e32 v19, 0x3f68dda4, v6
	v_add_f32_e32 v34, v34, v37
	v_mov_b32_e32 v37, v35
	v_fma_f32 v35, v7, s3, -v19
	v_fmac_f32_e32 v37, 0xbf75a155, v30
	v_add_f32_e32 v35, v35, v44
	v_mul_f32_e32 v44, 0x3f68dda4, v15
	v_fmac_f32_e32 v19, 0x3ed4b147, v7
	v_add_f32_e32 v37, v37, v45
	v_mov_b32_e32 v45, v44
	v_add_f32_e32 v19, v19, v36
	v_fma_f32 v36, v30, s3, -v44
	v_mul_f32_e32 v44, 0xbf0a6770, v6
	v_add_f32_e32 v36, v36, v46
	v_fma_f32 v46, v7, s2, -v44
	v_add_f32_e32 v46, v46, v49
	v_mul_f32_e32 v49, 0xbf0a6770, v15
	v_fmac_f32_e32 v44, 0x3f575c64, v7
	v_mul_f32_e32 v6, 0xbf4178ce, v6
	v_mov_b32_e32 v50, v49
	v_add_f32_e32 v44, v44, v47
	v_fma_f32 v47, v30, s2, -v49
	v_fma_f32 v49, v7, s5, -v6
	v_mul_f32_e32 v15, 0xbf4178ce, v15
	v_fmac_f32_e32 v6, 0xbf27a4f4, v7
	v_add_f32_e32 v1, v6, v1
	v_fma_f32 v6, v30, s5, -v15
	v_add_f32_e32 v7, v11, v10
	v_sub_f32_e32 v10, v11, v10
	v_fmac_f32_e32 v45, 0x3ed4b147, v30
	v_add_f32_e32 v0, v6, v0
	v_add_f32_e32 v6, v9, v14
	v_sub_f32_e32 v9, v9, v14
	v_mul_f32_e32 v11, 0xbf4178ce, v10
	v_add_f32_e32 v45, v45, v51
	v_mov_b32_e32 v51, v15
	v_fma_f32 v14, v6, s5, -v11
	v_mul_f32_e32 v15, 0xbf4178ce, v9
	v_fmac_f32_e32 v11, 0xbf27a4f4, v6
	v_fmac_f32_e32 v50, 0x3f575c64, v30
	v_fmac_f32_e32 v51, 0xbf27a4f4, v30
	v_mov_b32_e32 v30, v15
	v_add_f32_e32 v11, v11, v12
	v_fma_f32 v12, v7, s5, -v15
	v_mul_f32_e32 v15, 0x3f7d64f0, v10
	v_add_f32_e32 v14, v14, v31
	v_add_f32_e32 v12, v12, v16
	v_fma_f32 v16, v6, s4, -v15
	v_mul_f32_e32 v31, 0x3f7d64f0, v9
	v_fmac_f32_e32 v15, 0xbe11bafb, v6
	v_add_f32_e32 v15, v15, v17
	v_fma_f32 v17, v7, s4, -v31
	v_fmac_f32_e32 v30, 0xbf27a4f4, v7
	v_add_f32_e32 v17, v17, v18
	v_mul_f32_e32 v18, 0xbf0a6770, v10
	v_add_f32_e32 v30, v30, v34
	v_add_f32_e32 v16, v16, v32
	v_mov_b32_e32 v32, v31
	v_fma_f32 v31, v6, s2, -v18
	v_mul_f32_e32 v34, 0xbf0a6770, v9
	v_fmac_f32_e32 v18, 0x3f575c64, v6
	v_fmac_f32_e32 v32, 0xbe11bafb, v7
	v_add_f32_e32 v31, v31, v35
	v_mov_b32_e32 v35, v34
	v_add_f32_e32 v18, v18, v19
	v_fma_f32 v19, v7, s2, -v34
	v_mul_f32_e32 v34, 0xbe903f40, v10
	v_add_f32_e32 v32, v32, v37
	v_add_f32_e32 v19, v19, v36
	v_fma_f32 v36, v6, s6, -v34
	v_mul_f32_e32 v37, 0xbe903f40, v9
	v_fmac_f32_e32 v34, 0xbf75a155, v6
	v_add_f32_e32 v53, v53, v58
	v_add_f32_e32 v47, v47, v52
	v_fmac_f32_e32 v35, 0x3f575c64, v7
	v_add_f32_e32 v44, v34, v44
	v_fma_f32 v34, v7, s6, -v37
	v_mul_f32_e32 v10, 0x3f68dda4, v10
	v_add_f32_e32 v55, v55, v57
	v_add_f32_e32 v59, v59, v57
	;; [unrolled: 1-line block ×4, first 2 shown]
	v_mov_b32_e32 v45, v37
	v_add_f32_e32 v37, v34, v47
	v_fma_f32 v34, v6, s3, -v10
	v_mul_f32_e32 v9, 0x3f68dda4, v9
	v_add_f32_e32 v55, v56, v55
	v_add_f32_e32 v54, v54, v59
	;; [unrolled: 1-line block ×4, first 2 shown]
	v_mov_b32_e32 v34, v9
	v_fmac_f32_e32 v10, 0x3ed4b147, v6
	v_add_f32_e32 v50, v50, v55
	v_add_f32_e32 v51, v51, v54
	v_fmac_f32_e32 v45, 0xbf75a155, v7
	v_fmac_f32_e32 v34, 0x3ed4b147, v7
	v_add_f32_e32 v49, v10, v1
	v_fma_f32 v1, v7, s3, -v9
	v_sub_f32_e32 v53, v13, v8
	v_add_f32_e32 v45, v45, v50
	v_add_f32_e32 v47, v34, v51
	;; [unrolled: 1-line block ×4, first 2 shown]
	v_mul_f32_e32 v0, 0xbe903f40, v53
	v_sub_f32_e32 v48, v48, v33
	v_fma_f32 v1, v51, s6, -v0
	v_fmac_f32_e32 v0, 0xbf75a155, v51
	v_add_f32_e32 v0, v0, v11
	v_mul_f32_e32 v11, 0x3f0a6770, v48
	v_add_f32_e32 v52, v13, v8
	v_add_f32_e32 v6, v1, v14
	v_mul_f32_e32 v1, 0xbe903f40, v48
	v_mul_f32_e32 v10, 0x3f0a6770, v53
	v_mov_b32_e32 v9, v11
	v_mov_b32_e32 v7, v1
	v_fma_f32 v1, v52, s6, -v1
	v_fma_f32 v8, v51, s2, -v10
	v_fmac_f32_e32 v9, 0x3f575c64, v52
	v_fmac_f32_e32 v10, 0x3f575c64, v51
	v_add_f32_e32 v1, v1, v12
	v_add_f32_e32 v9, v9, v32
	;; [unrolled: 1-line block ×3, first 2 shown]
	v_fma_f32 v10, v52, s2, -v11
	v_mul_f32_e32 v12, 0xbf4178ce, v53
	v_mul_f32_e32 v13, 0xbf4178ce, v48
	v_add_f32_e32 v33, v10, v17
	v_fma_f32 v10, v51, s5, -v12
	v_mov_b32_e32 v11, v13
	v_fmac_f32_e32 v12, 0xbf27a4f4, v51
	v_fmac_f32_e32 v11, 0xbf27a4f4, v52
	v_add_f32_e32 v34, v12, v18
	v_fma_f32 v12, v52, s5, -v13
	v_mul_f32_e32 v14, 0x3f68dda4, v53
	v_fmac_f32_e32 v7, 0xbf75a155, v52
	v_add_f32_e32 v11, v11, v35
	v_add_f32_e32 v35, v12, v19
	v_fma_f32 v12, v51, s3, -v14
	v_mul_f32_e32 v15, 0x3f68dda4, v48
	v_fmac_f32_e32 v14, 0x3ed4b147, v51
	v_mul_f32_e32 v17, 0xbf7d64f0, v48
	v_add_f32_e32 v7, v7, v30
	v_add_f32_e32 v8, v8, v16
	v_mov_b32_e32 v13, v15
	v_add_f32_e32 v30, v14, v44
	v_fma_f32 v14, v52, s3, -v15
	v_mul_f32_e32 v16, 0xbf7d64f0, v53
	v_mov_b32_e32 v15, v17
	v_add_f32_e32 v10, v10, v31
	v_fmac_f32_e32 v13, 0x3ed4b147, v52
	v_add_f32_e32 v31, v14, v37
	v_fma_f32 v14, v51, s4, -v16
	v_fmac_f32_e32 v15, 0xbe11bafb, v52
	v_fmac_f32_e32 v16, 0xbe11bafb, v51
	v_fma_f32 v17, v52, s4, -v17
	v_mul_u32_u24_e32 v18, 0x790, v25
	v_lshlrev_b32_sdwa v19, v21, v60 dst_sel:DWORD dst_unused:UNUSED_PAD src0_sel:DWORD src1_sel:BYTE_0
	v_add_f32_e32 v12, v12, v36
	v_add_f32_e32 v13, v13, v45
	;; [unrolled: 1-line block ×6, first 2 shown]
	v_add3_u32 v18, 0, v18, v19
	v_add_u32_e32 v25, 0xf00, v38
	v_add_u32_e32 v21, 0x1e00, v38
	ds_write2_b64 v18, v[4:5], v[6:7] offset1:22
	ds_write2_b64 v18, v[8:9], v[10:11] offset0:44 offset1:66
	ds_write2_b64 v18, v[12:13], v[14:15] offset0:88 offset1:110
	;; [unrolled: 1-line block ×4, first 2 shown]
	ds_write_b64 v18, v[0:1] offset:1760
	s_waitcnt lgkmcnt(0)
	s_barrier
	ds_read2_b64 v[8:11], v38 offset1:242
	ds_read2_b64 v[12:15], v25 offset0:4 offset1:246
	ds_read2_b64 v[16:19], v21 offset0:8 offset1:250
	ds_read_b64 v[36:37], v38 offset:11616
	s_movk_i32 s2, 0x58
	v_cmp_gt_u32_e64 s[2:3], s2, v20
                                        ; implicit-def: $vgpr7
	s_and_saveexec_b64 s[4:5], s[2:3]
	s_cbranch_execz .LBB0_19
; %bb.18:
	v_add_u32_e32 v0, 0x1000, v38
	ds_read_b64 v[30:31], v43
	ds_read_b64 v[34:35], v38 offset:3168
	ds_read2_b32 v[32:33], v0 offset0:252 offset1:253
	v_add_u32_e32 v0, 0x1b80, v38
	v_add_u32_e32 v4, 0x2a80, v38
	ds_read2_b64 v[0:3], v0 offset1:242
	ds_read2_b64 v[4:7], v4 offset0:4 offset1:246
.LBB0_19:
	s_or_b64 exec, exec, s[4:5]
	v_mul_u32_u24_e32 v44, 6, v20
	v_lshlrev_b32_e32 v56, 3, v44
	global_load_dwordx4 v[44:47], v56, s[8:9] offset:1848
	global_load_dwordx4 v[48:51], v56, s[8:9] offset:1864
	;; [unrolled: 1-line block ×3, first 2 shown]
	s_mov_b32 s6, 0x3f5ff5aa
	s_mov_b32 s7, 0x3f3bfb3b
	;; [unrolled: 1-line block ×4, first 2 shown]
	s_waitcnt vmcnt(0) lgkmcnt(0)
	s_barrier
	v_mul_f32_e32 v56, v45, v11
	v_mul_f32_e32 v45, v45, v10
	;; [unrolled: 1-line block ×12, first 2 shown]
	v_fma_f32 v10, v44, v10, -v56
	v_fmac_f32_e32 v45, v44, v11
	v_fma_f32 v11, v46, v12, -v57
	v_fmac_f32_e32 v47, v46, v13
	;; [unrolled: 2-line block ×6, first 2 shown]
	v_add_f32_e32 v16, v10, v15
	v_add_f32_e32 v17, v45, v55
	;; [unrolled: 1-line block ×4, first 2 shown]
	v_sub_f32_e32 v10, v10, v15
	v_sub_f32_e32 v15, v45, v55
	;; [unrolled: 1-line block ×3, first 2 shown]
	v_add_f32_e32 v36, v12, v13
	v_add_f32_e32 v37, v49, v51
	v_sub_f32_e32 v12, v13, v12
	v_add_f32_e32 v44, v18, v16
	v_add_f32_e32 v45, v19, v17
	v_sub_f32_e32 v14, v47, v53
	v_sub_f32_e32 v13, v51, v49
	;; [unrolled: 1-line block ×8, first 2 shown]
	v_add_f32_e32 v48, v12, v11
	v_sub_f32_e32 v50, v12, v11
	v_sub_f32_e32 v11, v11, v10
	v_add_f32_e32 v36, v36, v44
	v_add_f32_e32 v37, v37, v45
	;; [unrolled: 1-line block ×3, first 2 shown]
	v_sub_f32_e32 v51, v13, v14
	v_sub_f32_e32 v12, v10, v12
	v_add_f32_e32 v10, v48, v10
	v_mul_f32_e32 v16, 0x3f4a47b2, v16
	v_mul_f32_e32 v17, 0x3f4a47b2, v17
	;; [unrolled: 1-line block ×5, first 2 shown]
	v_add_f32_e32 v8, v36, v8
	v_add_f32_e32 v9, v37, v9
	v_sub_f32_e32 v13, v15, v13
	v_sub_f32_e32 v14, v14, v15
	v_add_f32_e32 v15, v49, v15
	v_mul_f32_e32 v45, 0x3d64c772, v19
	v_mul_f32_e32 v49, 0xbf08b237, v51
	v_fma_f32 v44, v46, s7, -v44
	v_fma_f32 v46, v46, s10, -v16
	v_fmac_f32_e32 v16, 0x3d64c772, v18
	v_fma_f32 v18, v47, s10, -v17
	v_fmac_f32_e32 v17, 0x3d64c772, v19
	;; [unrolled: 2-line block ×3, first 2 shown]
	v_fma_f32 v50, v12, s11, -v50
	v_mov_b32_e32 v11, v8
	v_mov_b32_e32 v12, v9
	v_mul_f32_e32 v51, 0x3f5ff5aa, v14
	v_fma_f32 v45, v47, s7, -v45
	v_fma_f32 v47, v14, s6, -v49
	v_fmac_f32_e32 v49, 0x3eae86e6, v13
	v_fmac_f32_e32 v11, 0xbf955555, v36
	;; [unrolled: 1-line block ×3, first 2 shown]
	v_fma_f32 v36, v13, s11, -v51
	v_add_f32_e32 v37, v16, v11
	v_add_f32_e32 v51, v17, v12
	v_fmac_f32_e32 v48, 0x3ee1c552, v10
	v_fmac_f32_e32 v49, 0x3ee1c552, v15
	v_add_f32_e32 v16, v44, v11
	v_add_f32_e32 v17, v45, v12
	;; [unrolled: 1-line block ×4, first 2 shown]
	v_fmac_f32_e32 v19, 0x3ee1c552, v10
	v_fmac_f32_e32 v47, 0x3ee1c552, v15
	;; [unrolled: 1-line block ×4, first 2 shown]
	v_add_f32_e32 v10, v49, v37
	v_sub_f32_e32 v11, v51, v48
	v_add_f32_e32 v12, v36, v44
	v_sub_f32_e32 v13, v45, v50
	v_sub_f32_e32 v14, v16, v47
	v_add_f32_e32 v15, v19, v17
	v_add_f32_e32 v16, v47, v16
	v_sub_f32_e32 v17, v17, v19
	v_sub_f32_e32 v18, v44, v36
	v_add_f32_e32 v19, v50, v45
	v_sub_f32_e32 v36, v37, v49
	v_add_f32_e32 v37, v48, v51
	ds_write2_b64 v38, v[8:9], v[10:11] offset1:242
	ds_write2_b64 v25, v[12:13], v[14:15] offset0:4 offset1:246
	ds_write2_b64 v21, v[16:17], v[18:19] offset0:8 offset1:250
	ds_write_b64 v38, v[36:37] offset:11616
	s_and_saveexec_b64 s[4:5], s[2:3]
	s_cbranch_execz .LBB0_21
; %bb.20:
	v_add_u32_e32 v8, 0xffffffa8, v20
	v_cndmask_b32_e64 v8, v8, v24, s[2:3]
	v_mul_i32_i24_e32 v8, 6, v8
	v_mov_b32_e32 v9, 0
	v_lshlrev_b64 v[8:9], 3, v[8:9]
	v_mov_b32_e32 v10, s9
	v_add_co_u32_e64 v36, s[2:3], s8, v8
	v_addc_co_u32_e64 v37, s[2:3], v10, v9, s[2:3]
	global_load_dwordx4 v[8:11], v[36:37], off offset:1848
	global_load_dwordx4 v[12:15], v[36:37], off offset:1880
	;; [unrolled: 1-line block ×3, first 2 shown]
	s_waitcnt vmcnt(2)
	v_mul_f32_e32 v21, v35, v9
	s_waitcnt vmcnt(1)
	v_mul_f32_e32 v25, v7, v15
	;; [unrolled: 2-line block ×3, first 2 shown]
	v_mul_f32_e32 v37, v1, v17
	v_mul_f32_e32 v44, v33, v11
	;; [unrolled: 1-line block ×9, first 2 shown]
	v_fma_f32 v21, v34, v8, -v21
	v_fma_f32 v6, v6, v14, -v25
	;; [unrolled: 1-line block ×6, first 2 shown]
	v_fmac_f32_e32 v15, v7, v14
	v_fmac_f32_e32 v9, v35, v8
	;; [unrolled: 1-line block ×6, first 2 shown]
	v_sub_f32_e32 v1, v21, v6
	v_sub_f32_e32 v3, v2, v0
	;; [unrolled: 1-line block ×3, first 2 shown]
	v_add_f32_e32 v7, v9, v15
	v_add_f32_e32 v8, v17, v19
	;; [unrolled: 1-line block ×6, first 2 shown]
	v_sub_f32_e32 v9, v9, v15
	v_sub_f32_e32 v2, v19, v17
	;; [unrolled: 1-line block ×5, first 2 shown]
	v_add_f32_e32 v3, v3, v5
	v_sub_f32_e32 v14, v7, v8
	v_add_f32_e32 v16, v10, v7
	v_sub_f32_e32 v17, v6, v0
	;; [unrolled: 2-line block ×3, first 2 shown]
	v_sub_f32_e32 v21, v9, v2
	v_sub_f32_e32 v25, v2, v11
	v_add_f32_e32 v2, v2, v11
	v_sub_f32_e32 v32, v5, v1
	v_sub_f32_e32 v7, v10, v7
	v_mul_f32_e32 v10, 0xbf08b237, v13
	v_add_f32_e32 v13, v3, v1
	v_mul_f32_e32 v5, 0x3f4a47b2, v14
	v_add_f32_e32 v3, v8, v16
	;; [unrolled: 2-line block ×3, first 2 shown]
	v_sub_f32_e32 v18, v0, v4
	v_mul_f32_e32 v19, 0xbf08b237, v25
	v_add_f32_e32 v25, v2, v9
	v_mul_f32_e32 v2, 0x3f5ff5aa, v32
	v_mov_b32_e32 v33, v10
	v_mov_b32_e32 v34, v5
	v_add_f32_e32 v1, v31, v3
	v_add_f32_e32 v0, v30, v17
	v_mul_f32_e32 v14, 0x3d64c772, v15
	v_fma_f32 v35, v12, s11, -v2
	v_fmac_f32_e32 v33, 0x3eae86e6, v12
	v_fmac_f32_e32 v34, 0x3d64c772, v15
	v_mov_b32_e32 v12, v1
	v_mov_b32_e32 v15, v0
	v_sub_f32_e32 v6, v4, v6
	v_mov_b32_e32 v31, v8
	v_mov_b32_e32 v30, v19
	v_fmac_f32_e32 v12, 0xbf955555, v3
	v_fmac_f32_e32 v15, 0xbf955555, v17
	v_fma_f32 v4, v6, s10, -v8
	v_sub_f32_e32 v8, v11, v9
	v_mul_f32_e32 v16, 0x3d64c772, v18
	v_fmac_f32_e32 v31, 0x3d64c772, v18
	v_fmac_f32_e32 v30, 0x3eae86e6, v21
	v_add_f32_e32 v17, v34, v12
	v_add_f32_e32 v34, v4, v15
	v_mul_f32_e32 v4, 0x3f5ff5aa, v8
	v_fmac_f32_e32 v33, 0x3ee1c552, v13
	v_fmac_f32_e32 v30, 0x3ee1c552, v25
	v_add_f32_e32 v18, v31, v15
	v_fma_f32 v5, v7, s10, -v5
	v_fma_f32 v21, v21, s11, -v4
	;; [unrolled: 1-line block ×6, first 2 shown]
	v_fmac_f32_e32 v35, 0x3ee1c552, v13
	v_add_f32_e32 v31, v5, v12
	v_fmac_f32_e32 v21, 0x3ee1c552, v25
	v_add_f32_e32 v9, v7, v12
	v_fmac_f32_e32 v10, 0x3ee1c552, v13
	v_fmac_f32_e32 v8, 0x3ee1c552, v25
	v_add_f32_e32 v11, v6, v15
	v_sub_f32_e32 v13, v17, v33
	v_add_f32_e32 v12, v30, v18
	v_add_u32_e32 v14, 0x480, v38
	v_sub_f32_e32 v7, v9, v10
	v_add_f32_e32 v6, v8, v11
	v_add_f32_e32 v9, v10, v9
	v_sub_f32_e32 v8, v11, v8
	v_sub_f32_e32 v11, v31, v35
	v_add_f32_e32 v10, v21, v34
	ds_write2_b64 v14, v[0:1], v[12:13] offset0:10 offset1:252
	v_add_u32_e32 v0, 0x13c0, v38
	v_add_f32_e32 v5, v35, v31
	v_sub_f32_e32 v4, v34, v21
	ds_write2_b64 v0, v[10:11], v[8:9] offset0:6 offset1:248
	v_add_u32_e32 v0, 0x2300, v38
	v_add_f32_e32 v3, v33, v17
	v_sub_f32_e32 v2, v18, v30
	ds_write2_b64 v0, v[6:7], v[4:5] offset0:2 offset1:244
	ds_write_b64 v38, v[2:3] offset:12848
.LBB0_21:
	s_or_b64 exec, exec, s[4:5]
	s_waitcnt lgkmcnt(0)
	s_barrier
	ds_read_b64 v[2:3], v38
	s_add_u32 s6, s8, 0x3498
	v_lshlrev_b32_e32 v0, 3, v20
	s_addc_u32 s7, s9, 0
	v_sub_u32_e32 v4, 0, v0
	v_cmp_ne_u32_e64 s[2:3], 0, v20
                                        ; implicit-def: $vgpr1
                                        ; implicit-def: $vgpr5
	s_and_saveexec_b64 s[4:5], s[2:3]
	s_xor_b64 s[4:5], exec, s[4:5]
	s_cbranch_execz .LBB0_23
; %bb.22:
	v_mov_b32_e32 v21, 0
	v_lshlrev_b64 v[0:1], 3, v[20:21]
	v_mov_b32_e32 v5, s7
	v_add_co_u32_e64 v0, s[2:3], s6, v0
	v_addc_co_u32_e64 v1, s[2:3], v5, v1, s[2:3]
	global_load_dwordx2 v[6:7], v[0:1], off
	ds_read_b64 v[0:1], v4 offset:13552
	s_waitcnt lgkmcnt(0)
	v_add_f32_e32 v8, v0, v2
	v_sub_f32_e32 v0, v2, v0
	v_add_f32_e32 v5, v1, v3
	v_sub_f32_e32 v1, v3, v1
	v_mul_f32_e32 v3, 0.5, v0
	v_mul_f32_e32 v0, 0.5, v1
	;; [unrolled: 1-line block ×3, first 2 shown]
	s_waitcnt vmcnt(0)
	v_mul_f32_e32 v1, v7, v3
	v_fma_f32 v9, 0.5, v8, v1
	v_fma_f32 v5, v2, v7, v0
	v_fma_f32 v7, v2, v7, -v0
	v_fma_f32 v0, v8, 0.5, -v1
	v_fmac_f32_e32 v9, v6, v2
	v_fma_f32 v5, -v6, v3, v5
	v_fma_f32 v0, -v6, v2, v0
	ds_write_b32 v38, v9
	v_fma_f32 v1, -v6, v3, v7
                                        ; implicit-def: $vgpr2_vgpr3
.LBB0_23:
	s_andn2_saveexec_b64 s[2:3], s[4:5]
	s_cbranch_execz .LBB0_25
; %bb.24:
	v_mov_b32_e32 v5, 0
	ds_read_b32 v1, v5 offset:6780
	s_waitcnt lgkmcnt(1)
	v_add_f32_e32 v6, v2, v3
	v_sub_f32_e32 v0, v2, v3
	ds_write_b32 v38, v6
	s_waitcnt lgkmcnt(1)
	v_xor_b32_e32 v1, 0x80000000, v1
	ds_write_b32 v5, v1 offset:6780
	v_mov_b32_e32 v1, v5
.LBB0_25:
	s_or_b64 exec, exec, s[2:3]
	v_mov_b32_e32 v25, 0
	s_waitcnt lgkmcnt(0)
	v_lshlrev_b64 v[2:3], 3, v[24:25]
	v_mov_b32_e32 v6, s7
	v_add_co_u32_e64 v2, s[2:3], s6, v2
	v_addc_co_u32_e64 v3, s[2:3], v6, v3, s[2:3]
	global_load_dwordx2 v[2:3], v[2:3], off
	v_mov_b32_e32 v30, v25
	v_lshlrev_b64 v[6:7], 3, v[29:30]
	v_mov_b32_e32 v8, s7
	v_add_co_u32_e64 v6, s[2:3], s6, v6
	v_addc_co_u32_e64 v7, s[2:3], v8, v7, s[2:3]
	global_load_dwordx2 v[6:7], v[6:7], off
	v_mov_b32_e32 v29, v25
	;; [unrolled: 6-line block ×3, first 2 shown]
	v_lshlrev_b64 v[12:13], 3, v[27:28]
	ds_write_b32 v38, v5 offset:4
	ds_write_b64 v4, v[0:1] offset:13552
	v_mov_b32_e32 v5, s7
	v_add_co_u32_e64 v12, s[2:3], s6, v12
	v_addc_co_u32_e64 v13, s[2:3], v5, v13, s[2:3]
	ds_read_b64 v[0:1], v43
	ds_read_b64 v[10:11], v4 offset:12320
	global_load_dwordx2 v[12:13], v[12:13], off
	s_waitcnt lgkmcnt(0)
	v_add_f32_e32 v5, v0, v10
	v_sub_f32_e32 v0, v0, v10
	v_add_f32_e32 v14, v1, v11
	v_sub_f32_e32 v1, v1, v11
	v_mul_f32_e32 v11, 0.5, v0
	v_mul_f32_e32 v10, 0.5, v14
	v_mul_f32_e32 v0, 0.5, v1
	s_waitcnt vmcnt(3)
	v_mul_f32_e32 v14, v3, v11
	v_fma_f32 v1, v10, v3, v0
	v_fma_f32 v3, v10, v3, -v0
	v_fma_f32 v0, 0.5, v5, v14
	v_fma_f32 v1, -v2, v11, v1
	v_fma_f32 v5, v5, 0.5, -v14
	v_fmac_f32_e32 v0, v2, v10
	v_fma_f32 v3, -v2, v11, v3
	v_fma_f32 v2, -v2, v10, v5
	ds_write_b64 v43, v[0:1]
	ds_write_b64 v4, v[2:3] offset:12320
	ds_read_b64 v[0:1], v42
	ds_read_b64 v[2:3], v4 offset:11088
	s_waitcnt lgkmcnt(0)
	v_add_f32_e32 v5, v0, v2
	v_sub_f32_e32 v0, v0, v2
	v_add_f32_e32 v10, v1, v3
	v_sub_f32_e32 v1, v1, v3
	v_mul_f32_e32 v3, 0.5, v0
	v_mul_f32_e32 v2, 0.5, v10
	v_mul_f32_e32 v0, 0.5, v1
	s_waitcnt vmcnt(2)
	v_mul_f32_e32 v10, v7, v3
	v_fma_f32 v1, v2, v7, v0
	v_fma_f32 v7, v2, v7, -v0
	v_fma_f32 v0, 0.5, v5, v10
	v_fma_f32 v1, -v6, v3, v1
	v_fma_f32 v5, v5, 0.5, -v10
	v_fmac_f32_e32 v0, v6, v2
	v_fma_f32 v3, -v6, v3, v7
	v_fma_f32 v2, -v6, v2, v5
	ds_write_b64 v42, v[0:1]
	ds_write_b64 v4, v[2:3] offset:11088
	ds_read_b64 v[0:1], v41
	ds_read_b64 v[2:3], v4 offset:9856
	;; [unrolled: 22-line block ×3, first 2 shown]
	s_waitcnt lgkmcnt(0)
	v_add_f32_e32 v5, v0, v2
	v_sub_f32_e32 v0, v0, v2
	v_add_f32_e32 v6, v1, v3
	v_sub_f32_e32 v1, v1, v3
	v_mul_f32_e32 v3, 0.5, v0
	v_mul_f32_e32 v2, 0.5, v6
	;; [unrolled: 1-line block ×3, first 2 shown]
	s_waitcnt vmcnt(0)
	v_mul_f32_e32 v6, v13, v3
	v_fma_f32 v1, v2, v13, v0
	v_fma_f32 v7, v2, v13, -v0
	v_fma_f32 v0, 0.5, v5, v6
	v_fma_f32 v1, -v12, v3, v1
	v_fma_f32 v5, v5, 0.5, -v6
	v_fmac_f32_e32 v0, v12, v2
	v_fma_f32 v3, -v12, v3, v7
	v_fma_f32 v2, -v12, v2, v5
	ds_write_b64 v40, v[0:1]
	ds_write_b64 v4, v[2:3] offset:8624
	s_and_saveexec_b64 s[2:3], vcc
	s_cbranch_execz .LBB0_27
; %bb.26:
	v_mov_b32_e32 v27, v25
	v_lshlrev_b64 v[0:1], 3, v[26:27]
	v_mov_b32_e32 v2, s7
	v_add_co_u32_e32 v0, vcc, s6, v0
	v_addc_co_u32_e32 v1, vcc, v2, v1, vcc
	global_load_dwordx2 v[0:1], v[0:1], off
	ds_read_b64 v[2:3], v39
	ds_read_b64 v[5:6], v4 offset:7392
	s_waitcnt lgkmcnt(0)
	v_add_f32_e32 v7, v2, v5
	v_sub_f32_e32 v2, v2, v5
	v_add_f32_e32 v8, v3, v6
	v_sub_f32_e32 v3, v3, v6
	v_mul_f32_e32 v6, 0.5, v2
	v_mul_f32_e32 v5, 0.5, v8
	;; [unrolled: 1-line block ×3, first 2 shown]
	s_waitcnt vmcnt(0)
	v_mul_f32_e32 v3, v1, v6
	v_fma_f32 v8, v5, v1, v2
	v_fma_f32 v9, v5, v1, -v2
	v_fma_f32 v1, 0.5, v7, v3
	v_fma_f32 v2, -v0, v6, v8
	v_fma_f32 v3, v7, 0.5, -v3
	v_fmac_f32_e32 v1, v0, v5
	v_fma_f32 v6, -v0, v6, v9
	v_fma_f32 v5, -v0, v5, v3
	ds_write_b64 v39, v[1:2]
	ds_write_b64 v4, v[5:6] offset:7392
.LBB0_27:
	s_or_b64 exec, exec, s[2:3]
	s_waitcnt lgkmcnt(0)
	s_barrier
	s_and_saveexec_b64 s[2:3], s[0:1]
	s_cbranch_execz .LBB0_30
; %bb.28:
	v_mov_b32_e32 v21, 0
	ds_read2_b64 v[2:5], v38 offset1:154
	v_mov_b32_e32 v0, s13
	v_add_co_u32_e32 v1, vcc, s12, v22
	v_lshlrev_b64 v[10:11], 3, v[20:21]
	v_add_u32_e32 v6, 0x800, v38
	v_addc_co_u32_e32 v0, vcc, v0, v23, vcc
	ds_read2_b64 v[6:9], v6 offset0:52 offset1:206
	v_add_co_u32_e32 v10, vcc, v1, v10
	v_addc_co_u32_e32 v11, vcc, v0, v11, vcc
	s_waitcnt lgkmcnt(1)
	global_store_dwordx2 v[10:11], v[2:3], off
	global_store_dwordx2 v[10:11], v[4:5], off offset:1232
	s_waitcnt lgkmcnt(0)
	global_store_dwordx2 v[10:11], v[6:7], off offset:2464
	global_store_dwordx2 v[10:11], v[8:9], off offset:3696
	v_add_u32_e32 v2, 0x1200, v38
	ds_read2_b64 v[2:5], v2 offset0:40 offset1:194
	v_add_u32_e32 v6, 0x1c00, v38
	s_movk_i32 s0, 0x1000
	ds_read2_b64 v[6:9], v6 offset0:28 offset1:182
	v_add_co_u32_e32 v12, vcc, s0, v10
	v_addc_co_u32_e32 v13, vcc, 0, v11, vcc
	s_waitcnt lgkmcnt(1)
	global_store_dwordx2 v[12:13], v[2:3], off offset:832
	global_store_dwordx2 v[12:13], v[4:5], off offset:2064
	s_waitcnt lgkmcnt(0)
	global_store_dwordx2 v[12:13], v[6:7], off offset:3296
	v_add_u32_e32 v2, 0x2400, v38
	ds_read2_b64 v[2:5], v2 offset0:80 offset1:234
	s_movk_i32 s0, 0x2000
	v_add_co_u32_e32 v6, vcc, s0, v10
	v_addc_co_u32_e32 v7, vcc, 0, v11, vcc
	global_store_dwordx2 v[6:7], v[8:9], off offset:432
	s_waitcnt lgkmcnt(0)
	global_store_dwordx2 v[6:7], v[2:3], off offset:1664
	global_store_dwordx2 v[6:7], v[4:5], off offset:2896
	ds_read_b64 v[2:3], v38 offset:12320
	v_add_co_u32_e32 v4, vcc, 0x3000, v10
	v_addc_co_u32_e32 v5, vcc, 0, v11, vcc
	s_movk_i32 s0, 0x99
	v_cmp_eq_u32_e32 vcc, s0, v20
	s_waitcnt lgkmcnt(0)
	global_store_dwordx2 v[4:5], v[2:3], off offset:32
	s_and_b64 exec, exec, vcc
	s_cbranch_execz .LBB0_30
; %bb.29:
	ds_read_b64 v[2:3], v21 offset:13552
	v_add_co_u32_e32 v4, vcc, 0x3000, v1
	v_addc_co_u32_e32 v5, vcc, 0, v0, vcc
	s_waitcnt lgkmcnt(0)
	global_store_dwordx2 v[4:5], v[2:3], off offset:1264
.LBB0_30:
	s_endpgm
	.section	.rodata,"a",@progbits
	.p2align	6, 0x0
	.amdhsa_kernel fft_rtc_fwd_len1694_factors_11_2_11_7_wgs_154_tpt_154_halfLds_sp_ip_CI_unitstride_sbrr_R2C_dirReg
		.amdhsa_group_segment_fixed_size 0
		.amdhsa_private_segment_fixed_size 0
		.amdhsa_kernarg_size 88
		.amdhsa_user_sgpr_count 6
		.amdhsa_user_sgpr_private_segment_buffer 1
		.amdhsa_user_sgpr_dispatch_ptr 0
		.amdhsa_user_sgpr_queue_ptr 0
		.amdhsa_user_sgpr_kernarg_segment_ptr 1
		.amdhsa_user_sgpr_dispatch_id 0
		.amdhsa_user_sgpr_flat_scratch_init 0
		.amdhsa_user_sgpr_private_segment_size 0
		.amdhsa_uses_dynamic_stack 0
		.amdhsa_system_sgpr_private_segment_wavefront_offset 0
		.amdhsa_system_sgpr_workgroup_id_x 1
		.amdhsa_system_sgpr_workgroup_id_y 0
		.amdhsa_system_sgpr_workgroup_id_z 0
		.amdhsa_system_sgpr_workgroup_info 0
		.amdhsa_system_vgpr_workitem_id 0
		.amdhsa_next_free_vgpr 63
		.amdhsa_next_free_sgpr 22
		.amdhsa_reserve_vcc 1
		.amdhsa_reserve_flat_scratch 0
		.amdhsa_float_round_mode_32 0
		.amdhsa_float_round_mode_16_64 0
		.amdhsa_float_denorm_mode_32 3
		.amdhsa_float_denorm_mode_16_64 3
		.amdhsa_dx10_clamp 1
		.amdhsa_ieee_mode 1
		.amdhsa_fp16_overflow 0
		.amdhsa_exception_fp_ieee_invalid_op 0
		.amdhsa_exception_fp_denorm_src 0
		.amdhsa_exception_fp_ieee_div_zero 0
		.amdhsa_exception_fp_ieee_overflow 0
		.amdhsa_exception_fp_ieee_underflow 0
		.amdhsa_exception_fp_ieee_inexact 0
		.amdhsa_exception_int_div_zero 0
	.end_amdhsa_kernel
	.text
.Lfunc_end0:
	.size	fft_rtc_fwd_len1694_factors_11_2_11_7_wgs_154_tpt_154_halfLds_sp_ip_CI_unitstride_sbrr_R2C_dirReg, .Lfunc_end0-fft_rtc_fwd_len1694_factors_11_2_11_7_wgs_154_tpt_154_halfLds_sp_ip_CI_unitstride_sbrr_R2C_dirReg
                                        ; -- End function
	.section	.AMDGPU.csdata,"",@progbits
; Kernel info:
; codeLenInByte = 9780
; NumSgprs: 26
; NumVgprs: 63
; ScratchSize: 0
; MemoryBound: 0
; FloatMode: 240
; IeeeMode: 1
; LDSByteSize: 0 bytes/workgroup (compile time only)
; SGPRBlocks: 3
; VGPRBlocks: 15
; NumSGPRsForWavesPerEU: 26
; NumVGPRsForWavesPerEU: 63
; Occupancy: 4
; WaveLimiterHint : 1
; COMPUTE_PGM_RSRC2:SCRATCH_EN: 0
; COMPUTE_PGM_RSRC2:USER_SGPR: 6
; COMPUTE_PGM_RSRC2:TRAP_HANDLER: 0
; COMPUTE_PGM_RSRC2:TGID_X_EN: 1
; COMPUTE_PGM_RSRC2:TGID_Y_EN: 0
; COMPUTE_PGM_RSRC2:TGID_Z_EN: 0
; COMPUTE_PGM_RSRC2:TIDIG_COMP_CNT: 0
	.type	__hip_cuid_4c616e518da2055e,@object ; @__hip_cuid_4c616e518da2055e
	.section	.bss,"aw",@nobits
	.globl	__hip_cuid_4c616e518da2055e
__hip_cuid_4c616e518da2055e:
	.byte	0                               ; 0x0
	.size	__hip_cuid_4c616e518da2055e, 1

	.ident	"AMD clang version 19.0.0git (https://github.com/RadeonOpenCompute/llvm-project roc-6.4.0 25133 c7fe45cf4b819c5991fe208aaa96edf142730f1d)"
	.section	".note.GNU-stack","",@progbits
	.addrsig
	.addrsig_sym __hip_cuid_4c616e518da2055e
	.amdgpu_metadata
---
amdhsa.kernels:
  - .args:
      - .actual_access:  read_only
        .address_space:  global
        .offset:         0
        .size:           8
        .value_kind:     global_buffer
      - .offset:         8
        .size:           8
        .value_kind:     by_value
      - .actual_access:  read_only
        .address_space:  global
        .offset:         16
        .size:           8
        .value_kind:     global_buffer
      - .actual_access:  read_only
        .address_space:  global
        .offset:         24
        .size:           8
        .value_kind:     global_buffer
      - .offset:         32
        .size:           8
        .value_kind:     by_value
      - .actual_access:  read_only
        .address_space:  global
        .offset:         40
        .size:           8
        .value_kind:     global_buffer
      - .actual_access:  read_only
        .address_space:  global
        .offset:         48
        .size:           8
        .value_kind:     global_buffer
      - .offset:         56
        .size:           4
        .value_kind:     by_value
      - .actual_access:  read_only
        .address_space:  global
        .offset:         64
        .size:           8
        .value_kind:     global_buffer
      - .actual_access:  read_only
        .address_space:  global
        .offset:         72
        .size:           8
        .value_kind:     global_buffer
      - .address_space:  global
        .offset:         80
        .size:           8
        .value_kind:     global_buffer
    .group_segment_fixed_size: 0
    .kernarg_segment_align: 8
    .kernarg_segment_size: 88
    .language:       OpenCL C
    .language_version:
      - 2
      - 0
    .max_flat_workgroup_size: 154
    .name:           fft_rtc_fwd_len1694_factors_11_2_11_7_wgs_154_tpt_154_halfLds_sp_ip_CI_unitstride_sbrr_R2C_dirReg
    .private_segment_fixed_size: 0
    .sgpr_count:     26
    .sgpr_spill_count: 0
    .symbol:         fft_rtc_fwd_len1694_factors_11_2_11_7_wgs_154_tpt_154_halfLds_sp_ip_CI_unitstride_sbrr_R2C_dirReg.kd
    .uniform_work_group_size: 1
    .uses_dynamic_stack: false
    .vgpr_count:     63
    .vgpr_spill_count: 0
    .wavefront_size: 64
amdhsa.target:   amdgcn-amd-amdhsa--gfx906
amdhsa.version:
  - 1
  - 2
...

	.end_amdgpu_metadata
